;; amdgpu-corpus repo=ROCm/rocFFT kind=compiled arch=gfx906 opt=O3
	.text
	.amdgcn_target "amdgcn-amd-amdhsa--gfx906"
	.amdhsa_code_object_version 6
	.protected	fft_rtc_fwd_len1584_factors_4_2_2_11_3_3_wgs_176_tpt_176_halfLds_dp_ip_CI_unitstride_sbrr_C2R_dirReg ; -- Begin function fft_rtc_fwd_len1584_factors_4_2_2_11_3_3_wgs_176_tpt_176_halfLds_dp_ip_CI_unitstride_sbrr_C2R_dirReg
	.globl	fft_rtc_fwd_len1584_factors_4_2_2_11_3_3_wgs_176_tpt_176_halfLds_dp_ip_CI_unitstride_sbrr_C2R_dirReg
	.p2align	8
	.type	fft_rtc_fwd_len1584_factors_4_2_2_11_3_3_wgs_176_tpt_176_halfLds_dp_ip_CI_unitstride_sbrr_C2R_dirReg,@function
fft_rtc_fwd_len1584_factors_4_2_2_11_3_3_wgs_176_tpt_176_halfLds_dp_ip_CI_unitstride_sbrr_C2R_dirReg: ; @fft_rtc_fwd_len1584_factors_4_2_2_11_3_3_wgs_176_tpt_176_halfLds_dp_ip_CI_unitstride_sbrr_C2R_dirReg
; %bb.0:
	s_load_dwordx2 s[12:13], s[4:5], 0x50
	s_load_dwordx4 s[8:11], s[4:5], 0x0
	s_load_dwordx2 s[2:3], s[4:5], 0x18
	v_mul_u32_u24_e32 v1, 0x175, v0
	v_add_u32_sdwa v5, s6, v1 dst_sel:DWORD dst_unused:UNUSED_PAD src0_sel:DWORD src1_sel:WORD_1
	v_mov_b32_e32 v3, 0
	s_waitcnt lgkmcnt(0)
	v_cmp_lt_u64_e64 s[0:1], s[10:11], 2
	v_mov_b32_e32 v1, 0
	v_mov_b32_e32 v6, v3
	s_and_b64 vcc, exec, s[0:1]
	v_mov_b32_e32 v2, 0
	s_cbranch_vccnz .LBB0_8
; %bb.1:
	s_load_dwordx2 s[0:1], s[4:5], 0x10
	s_add_u32 s6, s2, 8
	s_addc_u32 s7, s3, 0
	v_mov_b32_e32 v1, 0
	v_mov_b32_e32 v2, 0
	s_waitcnt lgkmcnt(0)
	s_add_u32 s14, s0, 8
	s_addc_u32 s15, s1, 0
	s_mov_b64 s[16:17], 1
.LBB0_2:                                ; =>This Inner Loop Header: Depth=1
	s_load_dwordx2 s[18:19], s[14:15], 0x0
                                        ; implicit-def: $vgpr7_vgpr8
	s_waitcnt lgkmcnt(0)
	v_or_b32_e32 v4, s19, v6
	v_cmp_ne_u64_e32 vcc, 0, v[3:4]
	s_and_saveexec_b64 s[0:1], vcc
	s_xor_b64 s[20:21], exec, s[0:1]
	s_cbranch_execz .LBB0_4
; %bb.3:                                ;   in Loop: Header=BB0_2 Depth=1
	v_cvt_f32_u32_e32 v4, s18
	v_cvt_f32_u32_e32 v7, s19
	s_sub_u32 s0, 0, s18
	s_subb_u32 s1, 0, s19
	v_mac_f32_e32 v4, 0x4f800000, v7
	v_rcp_f32_e32 v4, v4
	v_mul_f32_e32 v4, 0x5f7ffffc, v4
	v_mul_f32_e32 v7, 0x2f800000, v4
	v_trunc_f32_e32 v7, v7
	v_mac_f32_e32 v4, 0xcf800000, v7
	v_cvt_u32_f32_e32 v7, v7
	v_cvt_u32_f32_e32 v4, v4
	v_mul_lo_u32 v8, s0, v7
	v_mul_hi_u32 v9, s0, v4
	v_mul_lo_u32 v11, s1, v4
	v_mul_lo_u32 v10, s0, v4
	v_add_u32_e32 v8, v9, v8
	v_add_u32_e32 v8, v8, v11
	v_mul_hi_u32 v9, v4, v10
	v_mul_lo_u32 v11, v4, v8
	v_mul_hi_u32 v13, v4, v8
	v_mul_hi_u32 v12, v7, v10
	v_mul_lo_u32 v10, v7, v10
	v_mul_hi_u32 v14, v7, v8
	v_add_co_u32_e32 v9, vcc, v9, v11
	v_addc_co_u32_e32 v11, vcc, 0, v13, vcc
	v_mul_lo_u32 v8, v7, v8
	v_add_co_u32_e32 v9, vcc, v9, v10
	v_addc_co_u32_e32 v9, vcc, v11, v12, vcc
	v_addc_co_u32_e32 v10, vcc, 0, v14, vcc
	v_add_co_u32_e32 v8, vcc, v9, v8
	v_addc_co_u32_e32 v9, vcc, 0, v10, vcc
	v_add_co_u32_e32 v4, vcc, v4, v8
	v_addc_co_u32_e32 v7, vcc, v7, v9, vcc
	v_mul_lo_u32 v8, s0, v7
	v_mul_hi_u32 v9, s0, v4
	v_mul_lo_u32 v10, s1, v4
	v_mul_lo_u32 v11, s0, v4
	v_add_u32_e32 v8, v9, v8
	v_add_u32_e32 v8, v8, v10
	v_mul_lo_u32 v12, v4, v8
	v_mul_hi_u32 v13, v4, v11
	v_mul_hi_u32 v14, v4, v8
	;; [unrolled: 1-line block ×3, first 2 shown]
	v_mul_lo_u32 v11, v7, v11
	v_mul_hi_u32 v9, v7, v8
	v_add_co_u32_e32 v12, vcc, v13, v12
	v_addc_co_u32_e32 v13, vcc, 0, v14, vcc
	v_mul_lo_u32 v8, v7, v8
	v_add_co_u32_e32 v11, vcc, v12, v11
	v_addc_co_u32_e32 v10, vcc, v13, v10, vcc
	v_addc_co_u32_e32 v9, vcc, 0, v9, vcc
	v_add_co_u32_e32 v8, vcc, v10, v8
	v_addc_co_u32_e32 v9, vcc, 0, v9, vcc
	v_add_co_u32_e32 v4, vcc, v4, v8
	v_addc_co_u32_e32 v9, vcc, v7, v9, vcc
	v_mad_u64_u32 v[7:8], s[0:1], v5, v9, 0
	v_mul_hi_u32 v10, v5, v4
	v_add_co_u32_e32 v11, vcc, v10, v7
	v_addc_co_u32_e32 v12, vcc, 0, v8, vcc
	v_mad_u64_u32 v[7:8], s[0:1], v6, v4, 0
	v_mad_u64_u32 v[9:10], s[0:1], v6, v9, 0
	v_add_co_u32_e32 v4, vcc, v11, v7
	v_addc_co_u32_e32 v4, vcc, v12, v8, vcc
	v_addc_co_u32_e32 v7, vcc, 0, v10, vcc
	v_add_co_u32_e32 v4, vcc, v4, v9
	v_addc_co_u32_e32 v9, vcc, 0, v7, vcc
	v_mul_lo_u32 v10, s19, v4
	v_mul_lo_u32 v11, s18, v9
	v_mad_u64_u32 v[7:8], s[0:1], s18, v4, 0
	v_add3_u32 v8, v8, v11, v10
	v_sub_u32_e32 v10, v6, v8
	v_mov_b32_e32 v11, s19
	v_sub_co_u32_e32 v7, vcc, v5, v7
	v_subb_co_u32_e64 v10, s[0:1], v10, v11, vcc
	v_subrev_co_u32_e64 v11, s[0:1], s18, v7
	v_subbrev_co_u32_e64 v10, s[0:1], 0, v10, s[0:1]
	v_cmp_le_u32_e64 s[0:1], s19, v10
	v_cndmask_b32_e64 v12, 0, -1, s[0:1]
	v_cmp_le_u32_e64 s[0:1], s18, v11
	v_cndmask_b32_e64 v11, 0, -1, s[0:1]
	v_cmp_eq_u32_e64 s[0:1], s19, v10
	v_cndmask_b32_e64 v10, v12, v11, s[0:1]
	v_add_co_u32_e64 v11, s[0:1], 2, v4
	v_addc_co_u32_e64 v12, s[0:1], 0, v9, s[0:1]
	v_add_co_u32_e64 v13, s[0:1], 1, v4
	v_addc_co_u32_e64 v14, s[0:1], 0, v9, s[0:1]
	v_subb_co_u32_e32 v8, vcc, v6, v8, vcc
	v_cmp_ne_u32_e64 s[0:1], 0, v10
	v_cmp_le_u32_e32 vcc, s19, v8
	v_cndmask_b32_e64 v10, v14, v12, s[0:1]
	v_cndmask_b32_e64 v12, 0, -1, vcc
	v_cmp_le_u32_e32 vcc, s18, v7
	v_cndmask_b32_e64 v7, 0, -1, vcc
	v_cmp_eq_u32_e32 vcc, s19, v8
	v_cndmask_b32_e32 v7, v12, v7, vcc
	v_cmp_ne_u32_e32 vcc, 0, v7
	v_cndmask_b32_e64 v7, v13, v11, s[0:1]
	v_cndmask_b32_e32 v8, v9, v10, vcc
	v_cndmask_b32_e32 v7, v4, v7, vcc
.LBB0_4:                                ;   in Loop: Header=BB0_2 Depth=1
	s_andn2_saveexec_b64 s[0:1], s[20:21]
	s_cbranch_execz .LBB0_6
; %bb.5:                                ;   in Loop: Header=BB0_2 Depth=1
	v_cvt_f32_u32_e32 v4, s18
	s_sub_i32 s20, 0, s18
	v_rcp_iflag_f32_e32 v4, v4
	v_mul_f32_e32 v4, 0x4f7ffffe, v4
	v_cvt_u32_f32_e32 v4, v4
	v_mul_lo_u32 v7, s20, v4
	v_mul_hi_u32 v7, v4, v7
	v_add_u32_e32 v4, v4, v7
	v_mul_hi_u32 v4, v5, v4
	v_mul_lo_u32 v7, v4, s18
	v_add_u32_e32 v8, 1, v4
	v_sub_u32_e32 v7, v5, v7
	v_subrev_u32_e32 v9, s18, v7
	v_cmp_le_u32_e32 vcc, s18, v7
	v_cndmask_b32_e32 v7, v7, v9, vcc
	v_cndmask_b32_e32 v4, v4, v8, vcc
	v_add_u32_e32 v8, 1, v4
	v_cmp_le_u32_e32 vcc, s18, v7
	v_cndmask_b32_e32 v7, v4, v8, vcc
	v_mov_b32_e32 v8, v3
.LBB0_6:                                ;   in Loop: Header=BB0_2 Depth=1
	s_or_b64 exec, exec, s[0:1]
	v_mul_lo_u32 v4, v8, s18
	v_mul_lo_u32 v11, v7, s19
	v_mad_u64_u32 v[9:10], s[0:1], v7, s18, 0
	s_load_dwordx2 s[0:1], s[6:7], 0x0
	s_add_u32 s16, s16, 1
	v_add3_u32 v4, v10, v11, v4
	v_sub_co_u32_e32 v5, vcc, v5, v9
	v_subb_co_u32_e32 v4, vcc, v6, v4, vcc
	s_waitcnt lgkmcnt(0)
	v_mul_lo_u32 v4, s0, v4
	v_mul_lo_u32 v6, s1, v5
	v_mad_u64_u32 v[1:2], s[0:1], s0, v5, v[1:2]
	s_addc_u32 s17, s17, 0
	s_add_u32 s6, s6, 8
	v_add3_u32 v2, v6, v2, v4
	v_mov_b32_e32 v4, s10
	v_mov_b32_e32 v5, s11
	s_addc_u32 s7, s7, 0
	v_cmp_ge_u64_e32 vcc, s[16:17], v[4:5]
	s_add_u32 s14, s14, 8
	s_addc_u32 s15, s15, 0
	s_cbranch_vccnz .LBB0_9
; %bb.7:                                ;   in Loop: Header=BB0_2 Depth=1
	v_mov_b32_e32 v5, v7
	v_mov_b32_e32 v6, v8
	s_branch .LBB0_2
.LBB0_8:
	v_mov_b32_e32 v8, v6
	v_mov_b32_e32 v7, v5
.LBB0_9:
	s_lshl_b64 s[0:1], s[10:11], 3
	s_add_u32 s0, s2, s0
	s_addc_u32 s1, s3, s1
	s_load_dwordx2 s[2:3], s[0:1], 0x0
	s_load_dwordx2 s[6:7], s[4:5], 0x20
	s_waitcnt lgkmcnt(0)
	v_mad_u64_u32 v[1:2], s[0:1], s2, v7, v[1:2]
	v_mul_lo_u32 v3, s2, v8
	v_mul_lo_u32 v4, s3, v7
	s_mov_b32 s0, 0x1745d18
	v_mul_hi_u32 v5, v0, s0
	v_cmp_gt_u64_e64 s[0:1], s[6:7], v[7:8]
	v_add3_u32 v2, v4, v2, v3
	v_lshlrev_b64 v[46:47], 4, v[1:2]
	v_mul_u32_u24_e32 v3, 0xb0, v5
	v_sub_u32_e32 v44, v0, v3
	s_and_saveexec_b64 s[2:3], s[0:1]
	s_cbranch_execz .LBB0_13
; %bb.10:
	v_mov_b32_e32 v45, 0
	v_mov_b32_e32 v0, s13
	v_add_co_u32_e32 v1, vcc, s12, v46
	v_lshlrev_b64 v[2:3], 4, v[44:45]
	v_addc_co_u32_e32 v0, vcc, v0, v47, vcc
	v_add_co_u32_e32 v33, vcc, v1, v2
	v_addc_co_u32_e32 v34, vcc, v0, v3, vcc
	v_add_co_u32_e32 v18, vcc, 0x1000, v33
	;; [unrolled: 2-line block ×5, first 2 shown]
	v_addc_co_u32_e32 v36, vcc, 0, v34, vcc
	global_load_dwordx4 v[2:5], v[33:34], off
	global_load_dwordx4 v[6:9], v[33:34], off offset:2816
	global_load_dwordx4 v[10:13], v[18:19], off offset:1536
	;; [unrolled: 1-line block ×3, first 2 shown]
	s_nop 0
	global_load_dwordx4 v[18:21], v[26:27], off offset:3072
	global_load_dwordx4 v[22:25], v[28:29], off offset:1792
	v_add_co_u32_e32 v37, vcc, 0x5000, v33
	global_load_dwordx4 v[26:29], v[35:36], off offset:512
	global_load_dwordx4 v[30:33], v[35:36], off offset:3328
	v_addc_co_u32_e32 v38, vcc, 0, v34, vcc
	global_load_dwordx4 v[34:37], v[37:38], off offset:2048
	s_movk_i32 s4, 0xaf
	v_lshl_add_u32 v38, v44, 4, 0
	v_cmp_eq_u32_e32 vcc, s4, v44
	s_waitcnt vmcnt(8)
	ds_write_b128 v38, v[2:5]
	s_waitcnt vmcnt(7)
	ds_write_b128 v38, v[6:9] offset:2816
	s_waitcnt vmcnt(6)
	ds_write_b128 v38, v[10:13] offset:5632
	;; [unrolled: 2-line block ×8, first 2 shown]
	s_and_saveexec_b64 s[4:5], vcc
	s_cbranch_execz .LBB0_12
; %bb.11:
	v_add_co_u32_e32 v1, vcc, 0x6000, v1
	v_addc_co_u32_e32 v2, vcc, 0, v0, vcc
	global_load_dwordx4 v[0:3], v[1:2], off offset:768
	v_mov_b32_e32 v44, 0xaf
	s_waitcnt vmcnt(0)
	ds_write_b128 v45, v[0:3] offset:25344
.LBB0_12:
	s_or_b64 exec, exec, s[4:5]
.LBB0_13:
	s_or_b64 exec, exec, s[2:3]
	v_lshlrev_b32_e32 v0, 4, v44
	v_add_u32_e32 v100, 0, v0
	s_waitcnt lgkmcnt(0)
	s_barrier
	v_sub_u32_e32 v10, 0, v0
	ds_read_b64 v[6:7], v100
	ds_read_b64 v[8:9], v10 offset:25344
	s_add_u32 s4, s8, 0x62c0
	s_addc_u32 s5, s9, 0
	v_cmp_ne_u32_e32 vcc, 0, v44
                                        ; implicit-def: $vgpr4_vgpr5
	s_waitcnt lgkmcnt(0)
	v_add_f64 v[0:1], v[6:7], v[8:9]
	v_add_f64 v[2:3], v[6:7], -v[8:9]
	s_and_saveexec_b64 s[2:3], vcc
	s_xor_b64 s[2:3], exec, s[2:3]
	s_cbranch_execz .LBB0_15
; %bb.14:
	v_mov_b32_e32 v45, 0
	v_lshlrev_b64 v[0:1], 4, v[44:45]
	v_mov_b32_e32 v2, s5
	v_add_co_u32_e32 v0, vcc, s4, v0
	v_addc_co_u32_e32 v1, vcc, v2, v1, vcc
	global_load_dwordx4 v[2:5], v[0:1], off
	ds_read_b64 v[0:1], v10 offset:25352
	ds_read_b64 v[11:12], v100 offset:8
	v_add_f64 v[13:14], v[6:7], v[8:9]
	v_add_f64 v[8:9], v[6:7], -v[8:9]
	s_waitcnt lgkmcnt(0)
	v_add_f64 v[15:16], v[0:1], v[11:12]
	v_add_f64 v[0:1], v[11:12], -v[0:1]
	s_waitcnt vmcnt(0)
	v_fma_f64 v[6:7], -v[8:9], v[4:5], v[13:14]
	v_fma_f64 v[11:12], v[15:16], v[4:5], -v[0:1]
	v_fma_f64 v[13:14], v[8:9], v[4:5], v[13:14]
	v_fma_f64 v[17:18], v[15:16], v[4:5], v[0:1]
	v_fma_f64 v[4:5], v[15:16], v[2:3], v[6:7]
	v_fma_f64 v[6:7], v[8:9], v[2:3], v[11:12]
	v_fma_f64 v[0:1], -v[15:16], v[2:3], v[13:14]
	v_fma_f64 v[2:3], v[8:9], v[2:3], v[17:18]
	ds_write_b128 v10, v[4:7] offset:25344
	v_mov_b32_e32 v4, v44
	v_mov_b32_e32 v5, v45
.LBB0_15:
	s_andn2_saveexec_b64 s[2:3], s[2:3]
	s_cbranch_execz .LBB0_17
; %bb.16:
	v_mov_b32_e32 v8, 0
	ds_read_b128 v[4:7], v8 offset:12672
	s_waitcnt lgkmcnt(0)
	v_add_f64 v[11:12], v[4:5], v[4:5]
	v_mul_f64 v[13:14], v[6:7], -2.0
	v_mov_b32_e32 v4, 0
	v_mov_b32_e32 v5, 0
	ds_write_b128 v8, v[11:14] offset:12672
.LBB0_17:
	s_or_b64 exec, exec, s[2:3]
	v_lshlrev_b64 v[4:5], 4, v[4:5]
	v_mov_b32_e32 v6, s5
	v_add_co_u32_e32 v8, vcc, s4, v4
	v_addc_co_u32_e32 v9, vcc, v6, v5, vcc
	global_load_dwordx4 v[4:7], v[8:9], off offset:2816
	s_movk_i32 s2, 0x1000
	v_add_co_u32_e32 v11, vcc, s2, v8
	v_addc_co_u32_e32 v12, vcc, 0, v9, vcc
	global_load_dwordx4 v[11:14], v[11:12], off offset:1536
	s_movk_i32 s2, 0x2000
	ds_write_b128 v100, v[0:3]
	v_add_co_u32_e32 v0, vcc, s2, v8
	v_addc_co_u32_e32 v1, vcc, 0, v9, vcc
	ds_read_b128 v[15:18], v100 offset:2816
	ds_read_b128 v[19:22], v10 offset:22528
	global_load_dwordx4 v[23:26], v[0:1], off offset:256
	s_movk_i32 s2, 0x58
	v_cmp_gt_u32_e32 vcc, s2, v44
	s_waitcnt lgkmcnt(0)
	v_add_f64 v[2:3], v[15:16], v[19:20]
	v_add_f64 v[27:28], v[21:22], v[17:18]
	v_add_f64 v[15:16], v[15:16], -v[19:20]
	v_add_f64 v[8:9], v[17:18], -v[21:22]
	s_waitcnt vmcnt(2)
	v_fma_f64 v[17:18], v[15:16], v[6:7], v[2:3]
	v_fma_f64 v[19:20], v[27:28], v[6:7], v[8:9]
	v_fma_f64 v[2:3], -v[15:16], v[6:7], v[2:3]
	v_fma_f64 v[21:22], v[27:28], v[6:7], -v[8:9]
	v_fma_f64 v[6:7], -v[27:28], v[4:5], v[17:18]
	v_fma_f64 v[8:9], v[15:16], v[4:5], v[19:20]
	v_fma_f64 v[2:3], v[27:28], v[4:5], v[2:3]
	;; [unrolled: 1-line block ×3, first 2 shown]
	ds_write_b128 v100, v[6:9] offset:2816
	ds_write_b128 v10, v[2:5] offset:22528
	ds_read_b128 v[2:5], v100 offset:5632
	ds_read_b128 v[6:9], v10 offset:19712
	s_waitcnt lgkmcnt(0)
	v_add_f64 v[15:16], v[2:3], v[6:7]
	v_add_f64 v[17:18], v[8:9], v[4:5]
	v_add_f64 v[19:20], v[2:3], -v[6:7]
	v_add_f64 v[2:3], v[4:5], -v[8:9]
	s_waitcnt vmcnt(1)
	v_fma_f64 v[4:5], v[19:20], v[13:14], v[15:16]
	v_fma_f64 v[6:7], v[17:18], v[13:14], v[2:3]
	v_fma_f64 v[8:9], -v[19:20], v[13:14], v[15:16]
	v_fma_f64 v[13:14], v[17:18], v[13:14], -v[2:3]
	v_fma_f64 v[2:3], -v[17:18], v[11:12], v[4:5]
	v_fma_f64 v[4:5], v[19:20], v[11:12], v[6:7]
	v_fma_f64 v[6:7], v[17:18], v[11:12], v[8:9]
	;; [unrolled: 1-line block ×3, first 2 shown]
	ds_write_b128 v100, v[2:5] offset:5632
	ds_write_b128 v10, v[6:9] offset:19712
	ds_read_b128 v[2:5], v100 offset:8448
	ds_read_b128 v[6:9], v10 offset:16896
	s_waitcnt lgkmcnt(0)
	v_add_f64 v[11:12], v[2:3], v[6:7]
	v_add_f64 v[13:14], v[8:9], v[4:5]
	v_add_f64 v[15:16], v[2:3], -v[6:7]
	v_add_f64 v[2:3], v[4:5], -v[8:9]
	s_waitcnt vmcnt(0)
	v_fma_f64 v[4:5], v[15:16], v[25:26], v[11:12]
	v_fma_f64 v[6:7], v[13:14], v[25:26], v[2:3]
	v_fma_f64 v[8:9], -v[15:16], v[25:26], v[11:12]
	v_fma_f64 v[11:12], v[13:14], v[25:26], -v[2:3]
	v_fma_f64 v[2:3], -v[13:14], v[23:24], v[4:5]
	v_fma_f64 v[4:5], v[15:16], v[23:24], v[6:7]
	v_fma_f64 v[6:7], v[13:14], v[23:24], v[8:9]
	;; [unrolled: 1-line block ×3, first 2 shown]
	ds_write_b128 v100, v[2:5] offset:8448
	ds_write_b128 v10, v[6:9] offset:16896
	s_and_saveexec_b64 s[2:3], vcc
	s_cbranch_execz .LBB0_19
; %bb.18:
	global_load_dwordx4 v[0:3], v[0:1], off offset:3072
	ds_read_b128 v[4:7], v100 offset:11264
	ds_read_b128 v[11:14], v10 offset:14080
	s_waitcnt lgkmcnt(0)
	v_add_f64 v[8:9], v[4:5], v[11:12]
	v_add_f64 v[15:16], v[13:14], v[6:7]
	v_add_f64 v[11:12], v[4:5], -v[11:12]
	v_add_f64 v[4:5], v[6:7], -v[13:14]
	s_waitcnt vmcnt(0)
	v_fma_f64 v[6:7], v[11:12], v[2:3], v[8:9]
	v_fma_f64 v[13:14], v[15:16], v[2:3], v[4:5]
	v_fma_f64 v[8:9], -v[11:12], v[2:3], v[8:9]
	v_fma_f64 v[17:18], v[15:16], v[2:3], -v[4:5]
	v_fma_f64 v[2:3], -v[15:16], v[0:1], v[6:7]
	v_fma_f64 v[4:5], v[11:12], v[0:1], v[13:14]
	v_fma_f64 v[6:7], v[15:16], v[0:1], v[8:9]
	;; [unrolled: 1-line block ×3, first 2 shown]
	ds_write_b128 v100, v[2:5] offset:11264
	ds_write_b128 v10, v[6:9] offset:14080
.LBB0_19:
	s_or_b64 exec, exec, s[2:3]
	s_waitcnt lgkmcnt(0)
	s_barrier
	s_barrier
	ds_read_b128 v[0:3], v100 offset:12672
	ds_read_b128 v[4:7], v100
	ds_read_b128 v[8:11], v100 offset:19008
	ds_read_b128 v[12:15], v100 offset:2816
	;; [unrolled: 1-line block ×4, first 2 shown]
	s_waitcnt lgkmcnt(4)
	v_add_f64 v[49:50], v[4:5], -v[0:1]
	v_add_f64 v[51:52], v[6:7], -v[2:3]
	ds_read_b128 v[0:3], v100 offset:5632
	ds_read_b128 v[24:27], v100 offset:18304
	s_waitcnt lgkmcnt(3)
	v_add_f64 v[53:54], v[12:13], -v[16:17]
	s_waitcnt lgkmcnt(2)
	v_add_f64 v[42:43], v[20:21], -v[8:9]
	v_add_f64 v[40:41], v[22:23], -v[10:11]
	v_mad_u32_u24 v48, v44, 48, v100
	s_waitcnt lgkmcnt(0)
	v_add_f64 v[55:56], v[2:3], -v[26:27]
	v_fma_f64 v[36:37], v[4:5], 2.0, -v[49:50]
	v_fma_f64 v[38:39], v[6:7], 2.0, -v[51:52]
	v_add_u32_e32 v45, 0x160, v44
	v_fma_f64 v[12:13], v[12:13], 2.0, -v[53:54]
	v_fma_f64 v[4:5], v[20:21], 2.0, -v[42:43]
	;; [unrolled: 1-line block ×3, first 2 shown]
	ds_read_b128 v[8:11], v100 offset:9152
	ds_read_b128 v[20:23], v100 offset:11968
	;; [unrolled: 1-line block ×4, first 2 shown]
	v_add_f64 v[40:41], v[49:50], -v[40:41]
	v_add_f64 v[42:43], v[51:52], v[42:43]
	s_waitcnt lgkmcnt(0)
	v_add_f64 v[28:29], v[8:9], -v[28:29]
	s_barrier
	v_add_f64 v[4:5], v[36:37], -v[4:5]
	v_add_f64 v[6:7], v[38:39], -v[6:7]
	;; [unrolled: 1-line block ×5, first 2 shown]
	v_fma_f64 v[8:9], v[8:9], 2.0, -v[28:29]
	v_cmp_gt_u32_e64 s[2:3], 44, v44
	v_fma_f64 v[36:37], v[36:37], 2.0, -v[4:5]
	v_fma_f64 v[38:39], v[38:39], 2.0, -v[6:7]
	;; [unrolled: 1-line block ×3, first 2 shown]
	v_add_f64 v[16:17], v[12:13], -v[8:9]
	ds_write_b128 v48, v[36:39]
	v_fma_f64 v[36:37], v[49:50], 2.0, -v[40:41]
	v_fma_f64 v[38:39], v[51:52], 2.0, -v[42:43]
	v_add_f64 v[49:50], v[14:15], -v[18:19]
	v_add_f64 v[51:52], v[0:1], -v[24:25]
	v_fma_f64 v[24:25], v[12:13], 2.0, -v[16:17]
	ds_write_b128 v48, v[36:39] offset:16
	v_fma_f64 v[34:35], v[14:15], 2.0, -v[49:50]
	v_fma_f64 v[8:9], v[0:1], 2.0, -v[51:52]
	;; [unrolled: 1-line block ×5, first 2 shown]
	v_add_f64 v[12:13], v[51:52], -v[32:33]
	v_add_f64 v[14:15], v[55:56], v[26:27]
	v_add_f64 v[20:21], v[53:54], -v[30:31]
	v_add_f64 v[18:19], v[34:35], -v[10:11]
	v_add_f64 v[22:23], v[49:50], v[28:29]
	ds_write_b128 v48, v[4:7] offset:32
	ds_write_b128 v48, v[40:43] offset:48
	v_add_f64 v[0:1], v[8:9], -v[0:1]
	v_add_f64 v[2:3], v[36:37], -v[2:3]
	v_fma_f64 v[10:11], v[55:56], 2.0, -v[14:15]
	v_fma_f64 v[28:29], v[53:54], 2.0, -v[20:21]
	;; [unrolled: 1-line block ×4, first 2 shown]
	v_add_u32_e32 v49, 0xb0, v44
	v_fma_f64 v[4:5], v[8:9], 2.0, -v[0:1]
	v_fma_f64 v[6:7], v[36:37], 2.0, -v[2:3]
	;; [unrolled: 1-line block ×3, first 2 shown]
	v_lshl_add_u32 v32, v49, 6, 0
	ds_write_b128 v32, v[24:27]
	ds_write_b128 v32, v[28:31] offset:16
	ds_write_b128 v32, v[16:19] offset:32
	;; [unrolled: 1-line block ×3, first 2 shown]
	s_and_saveexec_b64 s[4:5], s[2:3]
	s_cbranch_execz .LBB0_21
; %bb.20:
	v_lshl_add_u32 v16, v45, 6, 0
	ds_write_b128 v16, v[4:7]
	ds_write_b128 v16, v[8:11] offset:16
	ds_write_b128 v16, v[0:3] offset:32
	;; [unrolled: 1-line block ×3, first 2 shown]
.LBB0_21:
	s_or_b64 exec, exec, s[4:5]
	s_waitcnt lgkmcnt(0)
	s_barrier
	ds_read_b128 v[12:15], v100
	ds_read_b128 v[16:19], v100 offset:2816
	ds_read_b128 v[32:35], v100 offset:12672
	;; [unrolled: 1-line block ×7, first 2 shown]
	s_and_saveexec_b64 s[2:3], vcc
	s_cbranch_execz .LBB0_23
; %bb.22:
	s_movk_i32 s4, 0xffd0
	v_mad_i32_i24 v4, v44, s4, v48
	ds_read_b128 v[4:7], v4 offset:11264
	ds_read_b128 v[8:11], v100 offset:23936
.LBB0_23:
	s_or_b64 exec, exec, s[2:3]
	v_and_b32_e32 v53, 3, v44
	v_lshlrev_b32_e32 v48, 4, v53
	global_load_dwordx4 v[54:57], v48, s[8:9]
	v_lshlrev_b32_e32 v48, 1, v44
	v_lshlrev_b32_e32 v51, 1, v49
	s_movk_i32 s3, 0x3f8
	v_lshlrev_b32_e32 v50, 1, v45
	s_movk_i32 s4, 0x7f8
	v_and_or_b32 v58, v51, s3, v53
	v_add_u32_e32 v52, 0x420, v48
	v_and_or_b32 v59, v50, s4, v53
	v_lshl_add_u32 v77, v58, 4, 0
	v_and_or_b32 v58, v52, s4, v53
	v_lshl_add_u32 v78, v59, 4, 0
	v_lshl_add_u32 v79, v58, 4, 0
	s_movk_i32 s2, 0x1f8
	v_and_or_b32 v49, v48, s2, v53
	v_add_u32_e32 v76, 0x2c0, v44
	v_lshl_add_u32 v49, v49, 4, 0
	s_waitcnt vmcnt(0) lgkmcnt(0)
	s_barrier
	v_mul_f64 v[58:59], v[34:35], v[56:57]
	v_mul_f64 v[60:61], v[32:33], v[56:57]
	;; [unrolled: 1-line block ×10, first 2 shown]
	v_fma_f64 v[32:33], v[32:33], v[54:55], -v[58:59]
	v_fma_f64 v[34:35], v[34:35], v[54:55], v[60:61]
	v_fma_f64 v[58:59], v[28:29], v[54:55], -v[62:63]
	v_fma_f64 v[60:61], v[30:31], v[54:55], v[64:65]
	;; [unrolled: 2-line block ×5, first 2 shown]
	v_add_f64 v[28:29], v[12:13], -v[32:33]
	v_add_f64 v[30:31], v[14:15], -v[34:35]
	;; [unrolled: 1-line block ×10, first 2 shown]
	v_fma_f64 v[12:13], v[12:13], 2.0, -v[28:29]
	v_fma_f64 v[14:15], v[14:15], 2.0, -v[30:31]
	;; [unrolled: 1-line block ×10, first 2 shown]
	ds_write_b128 v49, v[28:31] offset:64
	ds_write_b128 v49, v[12:15]
	ds_write_b128 v77, v[16:19]
	ds_write_b128 v77, v[32:35] offset:64
	ds_write_b128 v78, v[20:23]
	ds_write_b128 v78, v[40:43] offset:64
	;; [unrolled: 2-line block ×3, first 2 shown]
	v_lshlrev_b32_e32 v49, 1, v76
	s_and_saveexec_b64 s[2:3], vcc
	s_cbranch_execz .LBB0_25
; %bb.24:
	v_and_or_b32 v4, v49, s4, v53
	v_lshl_add_u32 v4, v4, 4, 0
	ds_write_b128 v4, v[36:39]
	ds_write_b128 v4, v[8:11] offset:64
.LBB0_25:
	s_or_b64 exec, exec, s[2:3]
	s_waitcnt lgkmcnt(0)
	s_barrier
	ds_read_b128 v[4:7], v100
	ds_read_b128 v[16:19], v100 offset:2816
	ds_read_b128 v[24:27], v100 offset:12672
	;; [unrolled: 1-line block ×7, first 2 shown]
	s_and_saveexec_b64 s[2:3], vcc
	s_cbranch_execz .LBB0_27
; %bb.26:
	ds_read_b128 v[36:39], v100 offset:11264
	ds_read_b128 v[8:11], v100 offset:23936
.LBB0_27:
	s_or_b64 exec, exec, s[2:3]
	v_and_b32_e32 v53, 7, v44
	v_lshlrev_b32_e32 v54, 4, v53
	global_load_dwordx4 v[54:57], v54, s[8:9] offset:64
	s_movk_i32 s2, 0x1f0
	s_movk_i32 s3, 0x3f0
	;; [unrolled: 1-line block ×3, first 2 shown]
	v_and_or_b32 v58, v48, s2, v53
	v_and_or_b32 v59, v51, s3, v53
	;; [unrolled: 1-line block ×3, first 2 shown]
	v_lshl_add_u32 v76, v58, 4, 0
	v_lshl_add_u32 v77, v59, 4, 0
	;; [unrolled: 1-line block ×3, first 2 shown]
	v_and_or_b32 v52, v52, s4, v53
	s_waitcnt vmcnt(0) lgkmcnt(0)
	s_barrier
	v_lshl_add_u32 v52, v52, 4, 0
	v_mul_f64 v[58:59], v[26:27], v[56:57]
	v_mul_f64 v[60:61], v[24:25], v[56:57]
	;; [unrolled: 1-line block ×10, first 2 shown]
	v_fma_f64 v[24:25], v[24:25], v[54:55], -v[58:59]
	v_fma_f64 v[26:27], v[26:27], v[54:55], v[60:61]
	v_fma_f64 v[12:13], v[12:13], v[54:55], -v[62:63]
	v_fma_f64 v[14:15], v[14:15], v[54:55], v[64:65]
	;; [unrolled: 2-line block ×5, first 2 shown]
	v_add_f64 v[8:9], v[4:5], -v[24:25]
	v_add_f64 v[10:11], v[6:7], -v[26:27]
	;; [unrolled: 1-line block ×10, first 2 shown]
	v_fma_f64 v[4:5], v[4:5], 2.0, -v[8:9]
	v_fma_f64 v[6:7], v[6:7], 2.0, -v[10:11]
	;; [unrolled: 1-line block ×10, first 2 shown]
	ds_write_b128 v76, v[8:11] offset:128
	ds_write_b128 v76, v[4:7]
	ds_write_b128 v77, v[16:19]
	ds_write_b128 v77, v[12:15] offset:128
	ds_write_b128 v78, v[20:23]
	ds_write_b128 v78, v[24:27] offset:128
	ds_write_b128 v52, v[32:35]
	ds_write_b128 v52, v[28:31] offset:128
	s_and_saveexec_b64 s[2:3], vcc
	s_cbranch_execz .LBB0_29
; %bb.28:
	v_and_or_b32 v49, v49, s4, v53
	v_lshl_add_u32 v49, v49, 4, 0
	ds_write_b128 v49, v[36:39]
	ds_write_b128 v49, v[40:43] offset:128
.LBB0_29:
	s_or_b64 exec, exec, s[2:3]
	s_movk_i32 s2, 0x90
	v_cmp_gt_u32_e32 vcc, s2, v44
	s_waitcnt lgkmcnt(0)
	s_barrier
	s_and_saveexec_b64 s[2:3], vcc
	s_cbranch_execz .LBB0_31
; %bb.30:
	ds_read_b128 v[4:7], v100
	ds_read_b128 v[8:11], v100 offset:2304
	ds_read_b128 v[16:19], v100 offset:4608
	;; [unrolled: 1-line block ×10, first 2 shown]
.LBB0_31:
	s_or_b64 exec, exec, s[2:3]
	s_waitcnt lgkmcnt(0)
	s_barrier
	s_and_saveexec_b64 s[2:3], vcc
	s_cbranch_execz .LBB0_33
; %bb.32:
	v_and_b32_e32 v49, 15, v44
	v_mul_u32_u24_e32 v52, 10, v49
	v_lshlrev_b32_e32 v56, 4, v52
	global_load_dwordx4 v[52:55], v56, s[8:9] offset:256
	global_load_dwordx4 v[58:61], v56, s[8:9] offset:272
	;; [unrolled: 1-line block ×10, first 2 shown]
	s_mov_b32 s4, 0x9bcd5057
	s_mov_b32 s5, 0xbfeeb42a
	;; [unrolled: 1-line block ×30, first 2 shown]
	s_waitcnt vmcnt(9)
	v_mul_f64 v[56:57], v[24:25], v[54:55]
	v_mul_f64 v[70:71], v[26:27], v[54:55]
	s_waitcnt vmcnt(8)
	v_mul_f64 v[80:81], v[32:33], v[60:61]
	s_waitcnt vmcnt(6)
	v_mul_f64 v[96:97], v[28:29], v[68:69]
	v_mul_f64 v[60:61], v[34:35], v[60:61]
	;; [unrolled: 1-line block ×3, first 2 shown]
	s_waitcnt vmcnt(3)
	v_mul_f64 v[107:108], v[16:17], v[78:79]
	v_mul_f64 v[78:79], v[18:19], v[78:79]
	s_waitcnt vmcnt(2)
	v_mul_f64 v[109:110], v[8:9], v[90:91]
	s_waitcnt vmcnt(1)
	v_mul_f64 v[111:112], v[0:1], v[94:95]
	v_mul_f64 v[64:65], v[22:23], v[64:65]
	;; [unrolled: 1-line block ×5, first 2 shown]
	s_waitcnt vmcnt(0)
	v_mul_f64 v[113:114], v[40:41], v[103:104]
	v_fma_f64 v[54:55], v[26:27], v[52:53], v[56:57]
	v_fma_f64 v[56:57], v[24:25], v[52:53], -v[70:71]
	v_fma_f64 v[24:25], v[30:31], v[66:67], v[96:97]
	v_fma_f64 v[78:79], v[16:17], v[76:77], -v[78:79]
	v_fma_f64 v[96:97], v[10:11], v[88:89], v[109:110]
	v_fma_f64 v[16:17], v[2:3], v[92:93], v[111:112]
	v_mul_f64 v[74:75], v[14:15], v[74:75]
	v_mul_f64 v[105:106], v[36:37], v[84:85]
	;; [unrolled: 1-line block ×4, first 2 shown]
	v_fma_f64 v[34:35], v[34:35], v[58:59], v[80:81]
	v_fma_f64 v[52:53], v[32:33], v[58:59], -v[60:61]
	v_fma_f64 v[70:71], v[22:23], v[62:63], v[86:87]
	v_fma_f64 v[60:61], v[20:21], v[62:63], -v[64:65]
	;; [unrolled: 2-line block ×3, first 2 shown]
	v_fma_f64 v[18:19], v[0:1], v[92:93], -v[94:95]
	v_fma_f64 v[20:21], v[42:43], v[101:102], v[113:114]
	v_fma_f64 v[80:81], v[14:15], v[72:73], v[98:99]
	v_add_f64 v[98:99], v[96:97], v[16:17]
	v_fma_f64 v[22:23], v[40:41], v[101:102], -v[103:104]
	v_fma_f64 v[76:77], v[12:13], v[72:73], -v[74:75]
	v_fma_f64 v[12:13], v[38:39], v[82:83], v[105:106]
	v_fma_f64 v[14:15], v[36:37], v[82:83], -v[84:85]
	v_add_f64 v[82:83], v[88:89], -v[18:19]
	v_add_f64 v[94:95], v[86:87], v[20:21]
	v_add_f64 v[90:91], v[96:97], -v[16:17]
	v_mul_f64 v[0:1], v[98:99], s[4:5]
	v_mul_f64 v[68:69], v[30:31], v[68:69]
	v_add_f64 v[64:65], v[78:79], -v[22:23]
	v_add_f64 v[72:73], v[88:89], v[18:19]
	v_add_f64 v[74:75], v[86:87], -v[20:21]
	v_add_f64 v[92:93], v[80:81], v[12:13]
	v_mul_f64 v[8:9], v[94:95], s[16:17]
	v_mul_f64 v[2:3], v[90:91], s[10:11]
	v_fma_f64 v[117:118], v[82:83], s[6:7], v[0:1]
	v_fma_f64 v[26:27], v[28:29], v[66:67], -v[68:69]
	v_add_f64 v[66:67], v[78:79], v[22:23]
	v_add_f64 v[62:63], v[76:77], -v[14:15]
	v_add_f64 v[68:69], v[80:81], -v[12:13]
	v_add_f64 v[84:85], v[70:71], v[24:25]
	v_mul_f64 v[10:11], v[74:75], s[22:23]
	v_mul_f64 v[101:102], v[92:93], s[14:15]
	v_fma_f64 v[119:120], v[72:73], s[4:5], v[2:3]
	v_fma_f64 v[0:1], v[82:83], s[10:11], v[0:1]
	v_fma_f64 v[123:124], v[64:65], s[18:19], v[8:9]
	v_fma_f64 v[2:3], v[72:73], s[4:5], -v[2:3]
	v_add_f64 v[117:118], v[6:7], v[117:118]
	v_add_f64 v[58:59], v[76:77], v[14:15]
	v_add_f64 v[40:41], v[60:61], -v[26:27]
	v_add_f64 v[42:43], v[70:71], -v[24:25]
	v_add_f64 v[38:39], v[54:55], v[34:35]
	v_mul_f64 v[103:104], v[68:69], s[20:21]
	v_mul_f64 v[105:106], v[84:85], s[24:25]
	v_fma_f64 v[125:126], v[66:67], s[16:17], v[10:11]
	v_fma_f64 v[8:9], v[64:65], s[22:23], v[8:9]
	v_add_f64 v[119:120], v[4:5], v[119:120]
	v_fma_f64 v[10:11], v[66:67], s[16:17], -v[10:11]
	v_fma_f64 v[127:128], v[62:63], s[26:27], v[101:102]
	v_add_f64 v[0:1], v[6:7], v[0:1]
	v_add_f64 v[2:3], v[4:5], v[2:3]
	;; [unrolled: 1-line block ×4, first 2 shown]
	v_add_f64 v[28:29], v[56:57], -v[52:53]
	v_add_f64 v[36:37], v[54:55], -v[34:35]
	v_mul_f64 v[107:108], v[42:43], s[38:39]
	v_mul_f64 v[109:110], v[38:39], s[30:31]
	;; [unrolled: 1-line block ×3, first 2 shown]
	v_fma_f64 v[129:130], v[58:59], s[14:15], v[103:104]
	v_fma_f64 v[101:102], v[62:63], s[20:21], v[101:102]
	v_add_f64 v[119:120], v[125:126], v[119:120]
	v_fma_f64 v[123:124], v[40:41], s[28:29], v[105:106]
	v_fma_f64 v[103:104], v[58:59], s[14:15], -v[103:104]
	v_add_f64 v[0:1], v[8:9], v[0:1]
	v_add_f64 v[2:3], v[10:11], v[2:3]
	;; [unrolled: 1-line block ×4, first 2 shown]
	v_mul_f64 v[111:112], v[36:37], s[34:35]
	v_mul_f64 v[115:116], v[94:95], s[30:31]
	;; [unrolled: 1-line block ×3, first 2 shown]
	v_fma_f64 v[125:126], v[32:33], s[24:25], v[107:108]
	v_fma_f64 v[8:9], v[28:29], s[36:37], v[109:110]
	v_add_f64 v[117:118], v[129:130], v[119:120]
	v_fma_f64 v[105:106], v[40:41], s[38:39], v[105:106]
	v_fma_f64 v[119:120], v[82:83], s[26:27], v[113:114]
	v_fma_f64 v[107:108], v[32:33], s[24:25], -v[107:108]
	v_add_f64 v[0:1], v[101:102], v[0:1]
	v_add_f64 v[2:3], v[103:104], v[2:3]
	;; [unrolled: 1-line block ×3, first 2 shown]
	v_fma_f64 v[101:102], v[30:31], s[30:31], v[111:112]
	v_add_f64 v[103:104], v[125:126], v[117:118]
	v_fma_f64 v[123:124], v[64:65], s[34:35], v[115:116]
	v_add_f64 v[119:120], v[6:7], v[119:120]
	;; [unrolled: 2-line block ×3, first 2 shown]
	v_add_f64 v[107:108], v[107:108], v[2:3]
	v_mul_f64 v[127:128], v[74:75], s[36:37]
	v_add_f64 v[2:3], v[8:9], v[10:11]
	v_fma_f64 v[8:9], v[28:29], s[34:35], v[109:110]
	v_mul_f64 v[117:118], v[92:93], s[16:17]
	v_add_f64 v[0:1], v[101:102], v[103:104]
	v_add_f64 v[101:102], v[123:124], v[119:120]
	;; [unrolled: 1-line block ×3, first 2 shown]
	v_fma_f64 v[111:112], v[30:31], s[30:31], -v[111:112]
	v_fma_f64 v[123:124], v[66:67], s[30:31], v[127:128]
	v_mul_f64 v[109:110], v[84:85], s[4:5]
	v_add_f64 v[10:11], v[8:9], v[105:106]
	v_fma_f64 v[8:9], v[82:83], s[20:21], v[113:114]
	v_fma_f64 v[105:106], v[72:73], s[14:15], -v[121:122]
	v_fma_f64 v[103:104], v[62:63], s[22:23], v[117:118]
	v_mul_f64 v[125:126], v[68:69], s[18:19]
	v_fma_f64 v[115:116], v[64:65], s[36:37], v[115:116]
	v_add_f64 v[113:114], v[123:124], v[119:120]
	v_mul_f64 v[121:122], v[42:43], s[10:11]
	v_fma_f64 v[117:118], v[62:63], s[18:19], v[117:118]
	v_add_f64 v[123:124], v[6:7], v[8:9]
	v_add_f64 v[8:9], v[111:112], v[107:108]
	v_fma_f64 v[107:108], v[66:67], s[30:31], -v[127:128]
	v_add_f64 v[105:106], v[4:5], v[105:106]
	v_mul_f64 v[111:112], v[98:99], s[30:31]
	v_add_f64 v[101:102], v[103:104], v[101:102]
	v_fma_f64 v[103:104], v[40:41], s[6:7], v[109:110]
	v_fma_f64 v[119:120], v[58:59], s[16:17], v[125:126]
	v_add_f64 v[115:116], v[115:116], v[123:124]
	v_mul_f64 v[123:124], v[94:95], s[4:5]
	v_mul_f64 v[127:128], v[90:91], s[34:35]
	v_add_f64 v[105:106], v[107:108], v[105:106]
	v_fma_f64 v[107:108], v[82:83], s[36:37], v[111:112]
	v_mul_f64 v[129:130], v[36:37], s[38:39]
	v_add_f64 v[101:102], v[103:104], v[101:102]
	v_add_f64 v[103:104], v[119:120], v[113:114]
	v_fma_f64 v[113:114], v[32:33], s[4:5], v[121:122]
	v_mul_f64 v[119:120], v[38:39], s[24:25]
	v_fma_f64 v[125:126], v[58:59], s[16:17], -v[125:126]
	v_add_f64 v[115:116], v[117:118], v[115:116]
	v_add_f64 v[107:108], v[6:7], v[107:108]
	v_fma_f64 v[117:118], v[64:65], s[10:11], v[123:124]
	v_fma_f64 v[131:132], v[72:73], s[30:31], v[127:128]
	v_mul_f64 v[133:134], v[74:75], s[6:7]
	v_mul_f64 v[137:138], v[92:93], s[24:25]
	v_add_f64 v[113:114], v[113:114], v[103:104]
	v_fma_f64 v[103:104], v[28:29], s[28:29], v[119:120]
	v_fma_f64 v[135:136], v[30:31], s[24:25], v[129:130]
	v_add_f64 v[105:106], v[125:126], v[105:106]
	v_fma_f64 v[109:110], v[40:41], s[10:11], v[109:110]
	v_fma_f64 v[121:122], v[32:33], s[4:5], -v[121:122]
	v_add_f64 v[107:108], v[117:118], v[107:108]
	v_add_f64 v[117:118], v[4:5], v[131:132]
	v_fma_f64 v[125:126], v[66:67], s[4:5], v[133:134]
	v_mul_f64 v[131:132], v[68:69], s[38:39]
	v_fma_f64 v[139:140], v[62:63], s[28:29], v[137:138]
	v_mul_f64 v[141:142], v[84:85], s[16:17]
	v_add_f64 v[103:104], v[103:104], v[101:102]
	v_add_f64 v[101:102], v[135:136], v[113:114]
	;; [unrolled: 1-line block ×3, first 2 shown]
	v_fma_f64 v[113:114], v[28:29], s[38:39], v[119:120]
	v_add_f64 v[115:116], v[125:126], v[117:118]
	v_fma_f64 v[117:118], v[58:59], s[24:25], v[131:132]
	v_add_f64 v[119:120], v[139:140], v[107:108]
	v_mul_f64 v[125:126], v[42:43], s[18:19]
	v_fma_f64 v[135:136], v[40:41], s[22:23], v[141:142]
	v_add_f64 v[105:106], v[121:122], v[105:106]
	v_mul_f64 v[121:122], v[38:39], s[14:15]
	v_fma_f64 v[129:130], v[30:31], s[24:25], -v[129:130]
	v_fma_f64 v[111:112], v[82:83], s[34:35], v[111:112]
	v_add_f64 v[107:108], v[113:114], v[109:110]
	v_add_f64 v[109:110], v[117:118], v[115:116]
	v_fma_f64 v[113:114], v[32:33], s[16:17], v[125:126]
	v_add_f64 v[115:116], v[135:136], v[119:120]
	v_fma_f64 v[117:118], v[72:73], s[30:31], -v[127:128]
	v_fma_f64 v[119:120], v[28:29], s[26:27], v[121:122]
	v_mul_f64 v[127:128], v[98:99], s[24:25]
	v_add_f64 v[105:106], v[129:130], v[105:106]
	v_fma_f64 v[123:124], v[64:65], s[6:7], v[123:124]
	v_add_f64 v[129:130], v[6:7], v[111:112]
	v_add_f64 v[109:110], v[113:114], v[109:110]
	v_fma_f64 v[113:114], v[66:67], s[4:5], -v[133:134]
	v_add_f64 v[117:118], v[4:5], v[117:118]
	v_add_f64 v[111:112], v[119:120], v[115:116]
	v_fma_f64 v[115:116], v[82:83], s[38:39], v[127:128]
	v_mul_f64 v[119:120], v[94:95], s[14:15]
	v_fma_f64 v[135:136], v[62:63], s[38:39], v[137:138]
	v_add_f64 v[123:124], v[123:124], v[129:130]
	v_mul_f64 v[129:130], v[90:91], s[28:29]
	v_mul_f64 v[133:134], v[36:37], s[20:21]
	v_add_f64 v[113:114], v[113:114], v[117:118]
	v_fma_f64 v[117:118], v[58:59], s[24:25], -v[131:132]
	v_add_f64 v[115:116], v[6:7], v[115:116]
	v_fma_f64 v[131:132], v[64:65], s[26:27], v[119:120]
	v_mul_f64 v[137:138], v[92:93], s[4:5]
	v_mul_f64 v[145:146], v[74:75], s[20:21]
	v_fma_f64 v[143:144], v[72:73], s[24:25], v[129:130]
	v_add_f64 v[123:124], v[135:136], v[123:124]
	v_fma_f64 v[135:136], v[40:41], s[18:19], v[141:142]
	v_fma_f64 v[139:140], v[30:31], s[14:15], v[133:134]
	v_add_f64 v[113:114], v[117:118], v[113:114]
	v_add_f64 v[115:116], v[131:132], v[115:116]
	v_fma_f64 v[117:118], v[62:63], s[10:11], v[137:138]
	v_mul_f64 v[131:132], v[84:85], s[30:31]
	v_add_f64 v[141:142], v[4:5], v[143:144]
	v_fma_f64 v[143:144], v[66:67], s[14:15], v[145:146]
	v_mul_f64 v[147:148], v[68:69], s[6:7]
	v_add_f64 v[123:124], v[135:136], v[123:124]
	v_fma_f64 v[121:122], v[28:29], s[20:21], v[121:122]
	v_add_f64 v[109:110], v[139:140], v[109:110]
	v_add_f64 v[117:118], v[117:118], v[115:116]
	v_fma_f64 v[135:136], v[40:41], s[34:35], v[131:132]
	v_fma_f64 v[119:120], v[64:65], s[20:21], v[119:120]
	v_add_f64 v[139:140], v[143:144], v[141:142]
	v_fma_f64 v[141:142], v[58:59], s[4:5], v[147:148]
	v_mul_f64 v[143:144], v[38:39], s[16:17]
	v_add_f64 v[115:116], v[121:122], v[123:124]
	v_fma_f64 v[121:122], v[82:83], s[28:29], v[127:128]
	v_add_f64 v[88:89], v[4:5], v[88:89]
	v_add_f64 v[117:118], v[135:136], v[117:118]
	v_fma_f64 v[125:126], v[32:33], s[16:17], -v[125:126]
	v_fma_f64 v[133:134], v[30:31], s[14:15], -v[133:134]
	v_add_f64 v[123:124], v[141:142], v[139:140]
	v_fma_f64 v[139:140], v[28:29], s[18:19], v[143:144]
	v_mul_f64 v[141:142], v[98:99], s[16:17]
	v_add_f64 v[121:122], v[6:7], v[121:122]
	v_add_f64 v[78:79], v[88:89], v[78:79]
	v_fma_f64 v[127:128], v[72:73], s[24:25], -v[129:130]
	v_add_f64 v[113:114], v[125:126], v[113:114]
	v_mul_f64 v[125:126], v[42:43], s[36:37]
	v_mul_f64 v[135:136], v[36:37], s[22:23]
	v_add_f64 v[98:99], v[139:140], v[117:118]
	v_mul_f64 v[88:89], v[90:91], s[18:19]
	v_add_f64 v[117:118], v[119:120], v[121:122]
	v_add_f64 v[121:122], v[6:7], v[96:97]
	;; [unrolled: 1-line block ×4, first 2 shown]
	v_fma_f64 v[129:130], v[32:33], s[30:31], v[125:126]
	v_fma_f64 v[133:134], v[66:67], s[14:15], -v[145:146]
	v_add_f64 v[127:128], v[4:5], v[127:128]
	v_fma_f64 v[119:120], v[62:63], s[6:7], v[137:138]
	v_mul_f64 v[94:95], v[94:95], s[24:25]
	v_add_f64 v[86:87], v[121:122], v[86:87]
	v_add_f64 v[60:61], v[76:77], v[60:61]
	v_fma_f64 v[78:79], v[72:73], s[16:17], v[88:89]
	v_add_f64 v[123:124], v[129:130], v[123:124]
	v_fma_f64 v[129:130], v[30:31], s[16:17], v[135:136]
	v_add_f64 v[127:128], v[133:134], v[127:128]
	v_fma_f64 v[133:134], v[58:59], s[4:5], -v[147:148]
	v_mul_f64 v[74:75], v[74:75], s[28:29]
	v_add_f64 v[80:81], v[86:87], v[80:81]
	v_add_f64 v[56:57], v[60:61], v[56:57]
	v_fma_f64 v[72:73], v[72:73], s[16:17], -v[88:89]
	v_add_f64 v[117:118], v[119:120], v[117:118]
	v_add_f64 v[96:97], v[129:130], v[123:124]
	v_fma_f64 v[123:124], v[82:83], s[22:23], v[141:142]
	v_fma_f64 v[82:83], v[82:83], s[18:19], v[141:142]
	;; [unrolled: 1-line block ×3, first 2 shown]
	v_add_f64 v[70:71], v[80:81], v[70:71]
	v_add_f64 v[52:53], v[56:57], v[52:53]
	;; [unrolled: 1-line block ×3, first 2 shown]
	v_fma_f64 v[127:128], v[64:65], s[38:39], v[94:95]
	v_mul_f64 v[86:87], v[92:93], s[30:31]
	v_add_f64 v[123:124], v[6:7], v[123:124]
	v_add_f64 v[76:77], v[4:5], v[78:79]
	v_fma_f64 v[88:89], v[66:67], s[24:25], v[74:75]
	v_add_f64 v[54:55], v[70:71], v[54:55]
	v_add_f64 v[6:7], v[6:7], v[82:83]
	v_mul_f64 v[60:61], v[68:69], s[34:35]
	v_add_f64 v[4:5], v[4:5], v[72:73]
	v_fma_f64 v[64:65], v[64:65], s[28:29], v[94:95]
	v_fma_f64 v[66:67], v[66:67], s[24:25], -v[74:75]
	v_add_f64 v[26:27], v[52:53], v[26:27]
	v_add_f64 v[90:91], v[119:120], v[117:118]
	;; [unrolled: 1-line block ×4, first 2 shown]
	v_fma_f64 v[80:81], v[62:63], s[36:37], v[86:87]
	v_mul_f64 v[84:85], v[84:85], s[14:15]
	v_fma_f64 v[54:55], v[58:59], s[30:31], v[60:61]
	v_fma_f64 v[56:57], v[62:63], s[34:35], v[86:87]
	v_add_f64 v[6:7], v[64:65], v[6:7]
	v_fma_f64 v[58:59], v[58:59], s[30:31], -v[60:61]
	v_add_f64 v[24:25], v[34:35], v[24:25]
	v_mul_f64 v[42:43], v[42:43], s[20:21]
	v_add_f64 v[4:5], v[66:67], v[4:5]
	v_add_f64 v[70:71], v[88:89], v[76:77]
	;; [unrolled: 1-line block ×4, first 2 shown]
	v_fma_f64 v[80:81], v[40:41], s[26:27], v[84:85]
	v_fma_f64 v[40:41], v[40:41], s[20:21], v[84:85]
	v_add_f64 v[12:13], v[24:25], v[12:13]
	v_mul_f64 v[38:39], v[38:39], s[4:5]
	v_add_f64 v[6:7], v[56:57], v[6:7]
	v_fma_f64 v[52:53], v[32:33], s[14:15], -v[42:43]
	v_add_f64 v[4:5], v[58:59], v[4:5]
	v_mul_f64 v[24:25], v[36:37], s[10:11]
	v_fma_f64 v[125:126], v[32:33], s[30:31], -v[125:126]
	v_add_f64 v[34:35], v[54:55], v[70:71]
	v_fma_f64 v[26:27], v[32:33], s[14:15], v[42:43]
	v_add_f64 v[12:13], v[12:13], v[20:21]
	v_add_f64 v[22:23], v[14:15], v[22:23]
	v_fma_f64 v[119:120], v[28:29], s[22:23], v[143:144]
	v_fma_f64 v[32:33], v[28:29], s[6:7], v[38:39]
	;; [unrolled: 1-line block ×3, first 2 shown]
	v_add_f64 v[36:37], v[40:41], v[6:7]
	v_add_f64 v[38:39], v[52:53], v[4:5]
	v_fma_f64 v[40:41], v[30:31], s[4:5], -v[24:25]
	v_add_f64 v[92:93], v[125:126], v[121:122]
	v_fma_f64 v[121:122], v[30:31], s[16:17], -v[135:136]
	v_add_f64 v[68:69], v[80:81], v[78:79]
	v_fma_f64 v[30:31], v[30:31], s[4:5], v[24:25]
	v_add_f64 v[26:27], v[26:27], v[34:35]
	v_add_f64 v[20:21], v[12:13], v[16:17]
	v_add_f64 v[18:19], v[22:23], v[18:19]
	v_add_f64 v[14:15], v[28:29], v[36:37]
	v_add_f64 v[12:13], v[40:41], v[38:39]
	v_add_f64 v[6:7], v[119:120], v[90:91]
	v_add_f64 v[4:5], v[121:122], v[92:93]
	v_lshrrev_b32_e32 v16, 4, v44
	v_mul_u32_u24_e32 v16, 0xb0, v16
	v_or_b32_e32 v16, v16, v49
	v_lshl_add_u32 v16, v16, 4, 0
	v_add_f64 v[24:25], v[32:33], v[68:69]
	v_add_f64 v[22:23], v[30:31], v[26:27]
	ds_write_b128 v16, v[18:21]
	ds_write_b128 v16, v[12:15] offset:256
	ds_write_b128 v16, v[4:7] offset:512
	;; [unrolled: 1-line block ×10, first 2 shown]
.LBB0_33:
	s_or_b64 exec, exec, s[2:3]
	v_mov_b32_e32 v49, 0
	v_lshlrev_b64 v[0:1], 4, v[48:49]
	v_mov_b32_e32 v48, s9
	v_add_co_u32_e32 v60, vcc, s8, v0
	v_addc_co_u32_e32 v61, vcc, v48, v1, vcc
	s_mov_b32 s2, 0xba2f
	s_waitcnt lgkmcnt(0)
	s_barrier
	global_load_dwordx4 v[0:3], v[60:61], off offset:2752
	global_load_dwordx4 v[4:7], v[60:61], off offset:2768
	v_mul_u32_u24_sdwa v8, v45, s2 dst_sel:DWORD dst_unused:UNUSED_PAD src0_sel:WORD_0 src1_sel:DWORD
	v_lshrrev_b32_e32 v8, 23, v8
	v_mul_lo_u16_e32 v8, 0xb0, v8
	v_sub_u16_e32 v45, v45, v8
	v_lshlrev_b32_e32 v16, 5, v45
	global_load_dwordx4 v[8:11], v16, s[8:9] offset:2752
	global_load_dwordx4 v[12:15], v16, s[8:9] offset:2768
	ds_read_b128 v[16:19], v100
	ds_read_b128 v[20:23], v100 offset:2816
	ds_read_b128 v[24:27], v100 offset:16896
	;; [unrolled: 1-line block ×8, first 2 shown]
	s_mov_b32 s2, 0xe8584caa
	s_mov_b32 s3, 0x3febb67a
	;; [unrolled: 1-line block ×4, first 2 shown]
	s_movk_i32 s6, 0x20c0
	v_add_co_u32_e32 v62, vcc, s6, v60
	s_waitcnt vmcnt(0) lgkmcnt(0)
	s_barrier
	s_movk_i32 s7, 0x2000
	v_addc_co_u32_e32 v63, vcc, 0, v61, vcc
	v_add_co_u32_e32 v60, vcc, s7, v60
	v_lshl_add_u32 v45, v45, 4, 0
	v_addc_co_u32_e32 v61, vcc, 0, v61, vcc
	v_mul_f64 v[64:65], v[34:35], v[2:3]
	v_mul_f64 v[66:67], v[32:33], v[2:3]
	v_mul_f64 v[68:69], v[26:27], v[6:7]
	v_mul_f64 v[70:71], v[24:25], v[6:7]
	v_mul_f64 v[72:73], v[42:43], v[2:3]
	v_mul_f64 v[2:3], v[40:41], v[2:3]
	v_mul_f64 v[74:75], v[30:31], v[6:7]
	v_mul_f64 v[6:7], v[28:29], v[6:7]
	v_mul_f64 v[76:77], v[54:55], v[10:11]
	v_mul_f64 v[10:11], v[52:53], v[10:11]
	v_mul_f64 v[78:79], v[58:59], v[14:15]
	v_mul_f64 v[14:15], v[56:57], v[14:15]
	v_fma_f64 v[32:33], v[32:33], v[0:1], -v[64:65]
	v_fma_f64 v[34:35], v[34:35], v[0:1], v[66:67]
	v_fma_f64 v[24:25], v[24:25], v[4:5], -v[68:69]
	v_fma_f64 v[26:27], v[26:27], v[4:5], v[70:71]
	;; [unrolled: 2-line block ×6, first 2 shown]
	v_add_f64 v[14:15], v[32:33], v[24:25]
	v_add_f64 v[30:31], v[34:35], -v[26:27]
	v_add_f64 v[42:43], v[18:19], v[34:35]
	v_add_f64 v[34:35], v[34:35], v[26:27]
	;; [unrolled: 1-line block ×9, first 2 shown]
	v_add_f64 v[32:33], v[32:33], -v[24:25]
	v_fma_f64 v[14:15], v[14:15], -0.5, v[16:17]
	v_fma_f64 v[18:19], v[34:35], -0.5, v[18:19]
	v_add_f64 v[56:57], v[0:1], -v[6:7]
	v_add_f64 v[40:41], v[40:41], -v[28:29]
	v_add_f64 v[66:67], v[36:37], v[2:3]
	v_add_f64 v[76:77], v[2:3], -v[8:9]
	v_add_f64 v[0:1], v[12:13], v[24:25]
	v_add_f64 v[2:3], v[42:43], v[26:27]
	v_fma_f64 v[24:25], v[54:55], -0.5, v[20:21]
	v_fma_f64 v[26:27], v[64:65], -0.5, v[22:23]
	v_add_f64 v[72:73], v[38:39], v[4:5]
	v_add_f64 v[70:71], v[4:5], -v[10:11]
	v_add_f64 v[4:5], v[52:53], v[28:29]
	v_fma_f64 v[28:29], v[68:69], -0.5, v[36:37]
	v_fma_f64 v[34:35], v[74:75], -0.5, v[38:39]
	v_add_f64 v[6:7], v[58:59], v[6:7]
	v_fma_f64 v[12:13], v[30:31], s[2:3], v[14:15]
	v_fma_f64 v[16:17], v[30:31], s[4:5], v[14:15]
	;; [unrolled: 1-line block ×8, first 2 shown]
	v_add_f64 v[8:9], v[66:67], v[8:9]
	v_add_f64 v[10:11], v[72:73], v[10:11]
	ds_write_b128 v100, v[0:3]
	v_fma_f64 v[0:1], v[70:71], s[2:3], v[28:29]
	v_fma_f64 v[2:3], v[76:77], s[4:5], v[34:35]
	;; [unrolled: 1-line block ×4, first 2 shown]
	v_mov_b32_e32 v52, v49
	ds_write_b128 v100, v[4:7] offset:8448
	ds_write_b128 v100, v[12:15] offset:2816
	;; [unrolled: 1-line block ×8, first 2 shown]
	v_lshlrev_b64 v[8:9], 4, v[51:52]
	v_mov_b32_e32 v51, v49
	v_add_co_u32_e32 v8, vcc, s8, v8
	v_addc_co_u32_e32 v9, vcc, v48, v9, vcc
	v_add_co_u32_e32 v16, vcc, s6, v8
	v_addc_co_u32_e32 v17, vcc, 0, v9, vcc
	;; [unrolled: 2-line block ×3, first 2 shown]
	s_waitcnt lgkmcnt(0)
	s_barrier
	global_load_dwordx4 v[0:3], v[60:61], off offset:192
	global_load_dwordx4 v[4:7], v[62:63], off offset:16
	;; [unrolled: 1-line block ×4, first 2 shown]
	v_lshlrev_b64 v[16:17], 4, v[50:51]
	v_add_co_u32_e32 v20, vcc, s8, v16
	v_addc_co_u32_e32 v21, vcc, v48, v17, vcc
	v_add_co_u32_e32 v16, vcc, s7, v20
	v_addc_co_u32_e32 v17, vcc, 0, v21, vcc
	;; [unrolled: 2-line block ×3, first 2 shown]
	global_load_dwordx4 v[16:19], v[16:17], off offset:192
	s_nop 0
	global_load_dwordx4 v[20:23], v[20:21], off offset:16
	ds_read_b128 v[24:27], v100
	ds_read_b128 v[28:31], v100 offset:2816
	ds_read_b128 v[32:35], v100 offset:16896
	;; [unrolled: 1-line block ×8, first 2 shown]
	s_waitcnt vmcnt(0) lgkmcnt(0)
	s_barrier
	v_mul_f64 v[66:67], v[42:43], v[2:3]
	v_mul_f64 v[2:3], v[40:41], v[2:3]
	;; [unrolled: 1-line block ×8, first 2 shown]
	v_fma_f64 v[40:41], v[40:41], v[0:1], -v[66:67]
	v_fma_f64 v[0:1], v[42:43], v[0:1], v[2:3]
	v_fma_f64 v[2:3], v[32:33], v[4:5], -v[68:69]
	v_fma_f64 v[4:5], v[34:35], v[4:5], v[6:7]
	;; [unrolled: 2-line block ×4, first 2 shown]
	v_mul_f64 v[74:75], v[60:61], v[18:19]
	v_mul_f64 v[18:19], v[58:59], v[18:19]
	;; [unrolled: 1-line block ×4, first 2 shown]
	v_add_f64 v[32:33], v[40:41], v[2:3]
	v_add_f64 v[38:39], v[0:1], v[4:5]
	;; [unrolled: 1-line block ×3, first 2 shown]
	v_add_f64 v[56:57], v[8:9], -v[12:13]
	v_fma_f64 v[14:15], v[58:59], v[16:17], -v[74:75]
	v_fma_f64 v[16:17], v[60:61], v[16:17], v[18:19]
	v_fma_f64 v[18:19], v[62:63], v[20:21], -v[76:77]
	v_fma_f64 v[20:21], v[64:65], v[20:21], v[22:23]
	v_add_f64 v[22:23], v[24:25], v[40:41]
	v_add_f64 v[58:59], v[30:31], v[8:9]
	;; [unrolled: 1-line block ×7, first 2 shown]
	v_add_f64 v[66:67], v[16:17], -v[20:21]
	v_add_f64 v[16:17], v[16:17], v[20:21]
	v_add_f64 v[62:63], v[50:51], v[14:15]
	v_add_f64 v[34:35], v[0:1], -v[4:5]
	v_add_f64 v[40:41], v[40:41], -v[2:3]
	;; [unrolled: 1-line block ×3, first 2 shown]
	v_add_f64 v[0:1], v[22:23], v[2:3]
	v_fma_f64 v[14:15], v[32:33], -0.5, v[24:25]
	v_fma_f64 v[22:23], v[38:39], -0.5, v[26:27]
	v_add_f64 v[60:61], v[6:7], -v[10:11]
	v_fma_f64 v[24:25], v[54:55], -0.5, v[28:29]
	v_fma_f64 v[26:27], v[8:9], -0.5, v[30:31]
	v_add_f64 v[2:3], v[36:37], v[4:5]
	v_fma_f64 v[30:31], v[64:65], -0.5, v[50:51]
	v_fma_f64 v[36:37], v[16:17], -0.5, v[52:53]
	v_add_f64 v[4:5], v[42:43], v[10:11]
	v_add_f64 v[6:7], v[58:59], v[12:13]
	;; [unrolled: 1-line block ×4, first 2 shown]
	v_fma_f64 v[12:13], v[34:35], s[2:3], v[14:15]
	v_fma_f64 v[16:17], v[34:35], s[4:5], v[14:15]
	;; [unrolled: 1-line block ×12, first 2 shown]
	ds_write_b128 v100, v[0:3]
	ds_write_b128 v100, v[4:7] offset:2816
	ds_write_b128 v100, v[8:11] offset:5632
	;; [unrolled: 1-line block ×8, first 2 shown]
	s_waitcnt lgkmcnt(0)
	s_barrier
	s_and_saveexec_b64 s[2:3], s[0:1]
	s_cbranch_execz .LBB0_35
; %bb.34:
	v_lshl_add_u32 v10, v44, 4, 0
	v_mov_b32_e32 v45, v49
	ds_read_b128 v[0:3], v10
	v_mov_b32_e32 v4, s13
	v_add_co_u32_e32 v11, vcc, s12, v46
	v_addc_co_u32_e32 v12, vcc, v4, v47, vcc
	v_lshlrev_b64 v[4:5], 4, v[44:45]
	v_add_u32_e32 v48, 0xb0, v44
	v_add_co_u32_e32 v8, vcc, v11, v4
	v_addc_co_u32_e32 v9, vcc, v12, v5, vcc
	ds_read_b128 v[4:7], v10 offset:2816
	s_waitcnt lgkmcnt(1)
	global_store_dwordx4 v[8:9], v[0:3], off
	s_nop 0
	v_lshlrev_b64 v[0:1], 4, v[48:49]
	v_add_u32_e32 v48, 0x160, v44
	v_add_co_u32_e32 v0, vcc, v11, v0
	v_addc_co_u32_e32 v1, vcc, v12, v1, vcc
	s_waitcnt lgkmcnt(0)
	global_store_dwordx4 v[0:1], v[4:7], off
	ds_read_b128 v[0:3], v10 offset:5632
	v_lshlrev_b64 v[4:5], 4, v[48:49]
	v_add_u32_e32 v48, 0x210, v44
	v_add_co_u32_e32 v8, vcc, v11, v4
	v_addc_co_u32_e32 v9, vcc, v12, v5, vcc
	ds_read_b128 v[4:7], v10 offset:8448
	s_waitcnt lgkmcnt(1)
	global_store_dwordx4 v[8:9], v[0:3], off
	s_nop 0
	v_lshlrev_b64 v[0:1], 4, v[48:49]
	v_add_u32_e32 v48, 0x2c0, v44
	v_add_co_u32_e32 v0, vcc, v11, v0
	v_addc_co_u32_e32 v1, vcc, v12, v1, vcc
	s_waitcnt lgkmcnt(0)
	global_store_dwordx4 v[0:1], v[4:7], off
	ds_read_b128 v[0:3], v10 offset:11264
	;; [unrolled: 15-line block ×4, first 2 shown]
	v_lshlrev_b64 v[4:5], 4, v[48:49]
	v_add_co_u32_e32 v4, vcc, v11, v4
	v_addc_co_u32_e32 v5, vcc, v12, v5, vcc
	s_waitcnt lgkmcnt(0)
	global_store_dwordx4 v[4:5], v[0:3], off
.LBB0_35:
	s_endpgm
	.section	.rodata,"a",@progbits
	.p2align	6, 0x0
	.amdhsa_kernel fft_rtc_fwd_len1584_factors_4_2_2_11_3_3_wgs_176_tpt_176_halfLds_dp_ip_CI_unitstride_sbrr_C2R_dirReg
		.amdhsa_group_segment_fixed_size 0
		.amdhsa_private_segment_fixed_size 0
		.amdhsa_kernarg_size 88
		.amdhsa_user_sgpr_count 6
		.amdhsa_user_sgpr_private_segment_buffer 1
		.amdhsa_user_sgpr_dispatch_ptr 0
		.amdhsa_user_sgpr_queue_ptr 0
		.amdhsa_user_sgpr_kernarg_segment_ptr 1
		.amdhsa_user_sgpr_dispatch_id 0
		.amdhsa_user_sgpr_flat_scratch_init 0
		.amdhsa_user_sgpr_private_segment_size 0
		.amdhsa_uses_dynamic_stack 0
		.amdhsa_system_sgpr_private_segment_wavefront_offset 0
		.amdhsa_system_sgpr_workgroup_id_x 1
		.amdhsa_system_sgpr_workgroup_id_y 0
		.amdhsa_system_sgpr_workgroup_id_z 0
		.amdhsa_system_sgpr_workgroup_info 0
		.amdhsa_system_vgpr_workitem_id 0
		.amdhsa_next_free_vgpr 149
		.amdhsa_next_free_sgpr 40
		.amdhsa_reserve_vcc 1
		.amdhsa_reserve_flat_scratch 0
		.amdhsa_float_round_mode_32 0
		.amdhsa_float_round_mode_16_64 0
		.amdhsa_float_denorm_mode_32 3
		.amdhsa_float_denorm_mode_16_64 3
		.amdhsa_dx10_clamp 1
		.amdhsa_ieee_mode 1
		.amdhsa_fp16_overflow 0
		.amdhsa_exception_fp_ieee_invalid_op 0
		.amdhsa_exception_fp_denorm_src 0
		.amdhsa_exception_fp_ieee_div_zero 0
		.amdhsa_exception_fp_ieee_overflow 0
		.amdhsa_exception_fp_ieee_underflow 0
		.amdhsa_exception_fp_ieee_inexact 0
		.amdhsa_exception_int_div_zero 0
	.end_amdhsa_kernel
	.text
.Lfunc_end0:
	.size	fft_rtc_fwd_len1584_factors_4_2_2_11_3_3_wgs_176_tpt_176_halfLds_dp_ip_CI_unitstride_sbrr_C2R_dirReg, .Lfunc_end0-fft_rtc_fwd_len1584_factors_4_2_2_11_3_3_wgs_176_tpt_176_halfLds_dp_ip_CI_unitstride_sbrr_C2R_dirReg
                                        ; -- End function
	.section	.AMDGPU.csdata,"",@progbits
; Kernel info:
; codeLenInByte = 9736
; NumSgprs: 44
; NumVgprs: 149
; ScratchSize: 0
; MemoryBound: 0
; FloatMode: 240
; IeeeMode: 1
; LDSByteSize: 0 bytes/workgroup (compile time only)
; SGPRBlocks: 5
; VGPRBlocks: 37
; NumSGPRsForWavesPerEU: 44
; NumVGPRsForWavesPerEU: 149
; Occupancy: 1
; WaveLimiterHint : 1
; COMPUTE_PGM_RSRC2:SCRATCH_EN: 0
; COMPUTE_PGM_RSRC2:USER_SGPR: 6
; COMPUTE_PGM_RSRC2:TRAP_HANDLER: 0
; COMPUTE_PGM_RSRC2:TGID_X_EN: 1
; COMPUTE_PGM_RSRC2:TGID_Y_EN: 0
; COMPUTE_PGM_RSRC2:TGID_Z_EN: 0
; COMPUTE_PGM_RSRC2:TIDIG_COMP_CNT: 0
	.type	__hip_cuid_32694795a2324945,@object ; @__hip_cuid_32694795a2324945
	.section	.bss,"aw",@nobits
	.globl	__hip_cuid_32694795a2324945
__hip_cuid_32694795a2324945:
	.byte	0                               ; 0x0
	.size	__hip_cuid_32694795a2324945, 1

	.ident	"AMD clang version 19.0.0git (https://github.com/RadeonOpenCompute/llvm-project roc-6.4.0 25133 c7fe45cf4b819c5991fe208aaa96edf142730f1d)"
	.section	".note.GNU-stack","",@progbits
	.addrsig
	.addrsig_sym __hip_cuid_32694795a2324945
	.amdgpu_metadata
---
amdhsa.kernels:
  - .args:
      - .actual_access:  read_only
        .address_space:  global
        .offset:         0
        .size:           8
        .value_kind:     global_buffer
      - .offset:         8
        .size:           8
        .value_kind:     by_value
      - .actual_access:  read_only
        .address_space:  global
        .offset:         16
        .size:           8
        .value_kind:     global_buffer
      - .actual_access:  read_only
        .address_space:  global
        .offset:         24
        .size:           8
        .value_kind:     global_buffer
      - .offset:         32
        .size:           8
        .value_kind:     by_value
      - .actual_access:  read_only
        .address_space:  global
        .offset:         40
        .size:           8
        .value_kind:     global_buffer
      - .actual_access:  read_only
        .address_space:  global
        .offset:         48
        .size:           8
        .value_kind:     global_buffer
      - .offset:         56
        .size:           4
        .value_kind:     by_value
      - .actual_access:  read_only
        .address_space:  global
        .offset:         64
        .size:           8
        .value_kind:     global_buffer
      - .actual_access:  read_only
        .address_space:  global
        .offset:         72
        .size:           8
        .value_kind:     global_buffer
      - .address_space:  global
        .offset:         80
        .size:           8
        .value_kind:     global_buffer
    .group_segment_fixed_size: 0
    .kernarg_segment_align: 8
    .kernarg_segment_size: 88
    .language:       OpenCL C
    .language_version:
      - 2
      - 0
    .max_flat_workgroup_size: 176
    .name:           fft_rtc_fwd_len1584_factors_4_2_2_11_3_3_wgs_176_tpt_176_halfLds_dp_ip_CI_unitstride_sbrr_C2R_dirReg
    .private_segment_fixed_size: 0
    .sgpr_count:     44
    .sgpr_spill_count: 0
    .symbol:         fft_rtc_fwd_len1584_factors_4_2_2_11_3_3_wgs_176_tpt_176_halfLds_dp_ip_CI_unitstride_sbrr_C2R_dirReg.kd
    .uniform_work_group_size: 1
    .uses_dynamic_stack: false
    .vgpr_count:     149
    .vgpr_spill_count: 0
    .wavefront_size: 64
amdhsa.target:   amdgcn-amd-amdhsa--gfx906
amdhsa.version:
  - 1
  - 2
...

	.end_amdgpu_metadata
